;; amdgpu-corpus repo=ROCm/rocFFT kind=compiled arch=gfx906 opt=O3
	.text
	.amdgcn_target "amdgcn-amd-amdhsa--gfx906"
	.amdhsa_code_object_version 6
	.protected	fft_rtc_fwd_len512_factors_8_8_8_wgs_256_tpt_64_half_op_CI_CI_sbcc_twdbase5_3step ; -- Begin function fft_rtc_fwd_len512_factors_8_8_8_wgs_256_tpt_64_half_op_CI_CI_sbcc_twdbase5_3step
	.globl	fft_rtc_fwd_len512_factors_8_8_8_wgs_256_tpt_64_half_op_CI_CI_sbcc_twdbase5_3step
	.p2align	8
	.type	fft_rtc_fwd_len512_factors_8_8_8_wgs_256_tpt_64_half_op_CI_CI_sbcc_twdbase5_3step,@function
fft_rtc_fwd_len512_factors_8_8_8_wgs_256_tpt_64_half_op_CI_CI_sbcc_twdbase5_3step: ; @fft_rtc_fwd_len512_factors_8_8_8_wgs_256_tpt_64_half_op_CI_CI_sbcc_twdbase5_3step
; %bb.0:
	s_load_dwordx8 s[8:15], s[4:5], 0x8
	s_load_dwordx2 s[28:29], s[4:5], 0x28
	s_movk_i32 s0, 0x60
	v_cmp_gt_u32_e32 vcc, s0, v0
	s_and_saveexec_b64 s[0:1], vcc
	s_cbranch_execz .LBB0_2
; %bb.1:
	v_lshlrev_b32_e32 v1, 2, v0
	s_waitcnt lgkmcnt(0)
	global_load_dword v2, v1, s[8:9]
	v_add_u32_e32 v1, 0, v1
	s_waitcnt vmcnt(0)
	ds_write_b32 v1, v2 offset:8192
.LBB0_2:
	s_or_b64 exec, exec, s[0:1]
	s_waitcnt lgkmcnt(0)
	s_load_dwordx2 s[30:31], s[12:13], 0x8
	s_mov_b32 s7, 0
	s_mov_b64 s[2:3], 0
	s_waitcnt lgkmcnt(0)
	s_add_u32 s0, s30, -1
	s_addc_u32 s1, s31, -1
	s_lshr_b64 s[0:1], s[0:1], 2
	s_add_u32 s34, s0, 1
	s_addc_u32 s35, s1, 0
	v_mov_b32_e32 v1, s34
	v_mov_b32_e32 v2, s35
	v_cmp_lt_u64_e32 vcc, s[6:7], v[1:2]
	s_cbranch_vccnz .LBB0_4
; %bb.3:
	v_cvt_f32_u32_e32 v1, s34
	s_sub_i32 s0, 0, s34
	v_rcp_iflag_f32_e32 v1, v1
	v_mul_f32_e32 v1, 0x4f7ffffe, v1
	v_cvt_u32_f32_e32 v1, v1
	v_readfirstlane_b32 s1, v1
	s_mul_i32 s0, s0, s1
	s_mul_hi_u32 s0, s1, s0
	s_add_i32 s1, s1, s0
	s_mul_hi_u32 s0, s6, s1
	s_mul_i32 s2, s0, s34
	s_sub_i32 s2, s6, s2
	s_add_i32 s1, s0, 1
	s_sub_i32 s3, s2, s34
	s_cmp_ge_u32 s2, s34
	s_cselect_b32 s0, s1, s0
	s_cselect_b32 s2, s3, s2
	s_add_i32 s1, s0, 1
	s_cmp_ge_u32 s2, s34
	s_cselect_b32 s2, s1, s0
	s_mov_b32 s3, s7
.LBB0_4:
	s_load_dwordx4 s[20:23], s[4:5], 0x60
	s_load_dwordx2 s[8:9], s[4:5], 0x0
	s_load_dwordx4 s[24:27], s[14:15], 0x0
	s_mul_i32 s0, s2, s35
	s_mul_hi_u32 s1, s2, s34
	s_add_i32 s1, s1, s0
	s_mul_i32 s0, s2, s34
	s_sub_u32 s0, s6, s0
	s_subb_u32 s1, 0, s1
	v_mov_b32_e32 v1, s0
	s_load_dwordx4 s[16:19], s[28:29], 0x0
	v_alignbit_b32 v1, s1, v1, 30
	s_waitcnt lgkmcnt(0)
	v_mul_lo_u32 v2, s26, v1
	s_lshl_b64 s[4:5], s[0:1], 2
	s_mul_hi_u32 s0, s26, s4
	v_mul_lo_u32 v1, s18, v1
	v_add_u32_e32 v2, s0, v2
	s_mul_i32 s0, s27, s4
	v_add_u32_e32 v4, s0, v2
	s_mul_i32 s0, s26, s4
	v_mov_b32_e32 v3, s0
	s_mul_hi_u32 s0, s18, s4
	v_add_u32_e32 v1, s0, v1
	s_mul_i32 s0, s19, s4
	v_add_u32_e32 v2, s0, v1
	v_cmp_lt_u64_e64 s[0:1], s[10:11], 3
	s_mul_i32 s33, s18, s4
	v_mov_b32_e32 v1, s33
	s_and_b64 vcc, exec, s[0:1]
	s_cbranch_vccnz .LBB0_13
; %bb.5:
	s_add_u32 s36, s28, 16
	s_addc_u32 s37, s29, 0
	s_add_u32 s38, s14, 16
	s_addc_u32 s39, s15, 0
	s_add_u32 s12, s12, 16
	v_mov_b32_e32 v5, s10
	s_addc_u32 s13, s13, 0
	s_mov_b64 s[40:41], 2
	s_mov_b32 s42, 0
	v_mov_b32_e32 v6, s11
	s_branch .LBB0_7
.LBB0_6:                                ;   in Loop: Header=BB0_7 Depth=1
	s_mul_i32 s33, s44, s35
	s_mul_hi_u32 s35, s44, s34
	s_add_i32 s33, s35, s33
	s_mul_i32 s35, s45, s34
	s_add_i32 s35, s33, s35
	s_mul_i32 s33, s0, s45
	s_mul_hi_u32 s43, s0, s44
	s_load_dwordx2 s[46:47], s[38:39], 0x0
	s_add_i32 s33, s43, s33
	s_mul_i32 s43, s1, s44
	s_add_i32 s33, s33, s43
	s_mul_i32 s43, s0, s44
	s_sub_u32 s43, s2, s43
	s_subb_u32 s33, s3, s33
	s_waitcnt lgkmcnt(0)
	s_mul_i32 s2, s46, s33
	s_mul_hi_u32 s3, s46, s43
	s_add_i32 s2, s3, s2
	s_mul_i32 s3, s47, s43
	s_add_i32 s2, s2, s3
	v_mov_b32_e32 v7, s2
	s_load_dwordx2 s[2:3], s[36:37], 0x0
	s_mul_i32 s34, s44, s34
	s_mul_i32 s44, s46, s43
	v_add_co_u32_e32 v3, vcc, s44, v3
	s_waitcnt lgkmcnt(0)
	s_mul_i32 s33, s2, s33
	s_mul_hi_u32 s44, s2, s43
	s_add_i32 s33, s44, s33
	s_mul_i32 s3, s3, s43
	s_add_i32 s3, s33, s3
	s_add_u32 s40, s40, 1
	s_addc_u32 s41, s41, 0
	v_addc_co_u32_e32 v4, vcc, v7, v4, vcc
	s_mul_i32 s2, s2, s43
	s_add_u32 s36, s36, 8
	v_mov_b32_e32 v7, s3
	v_add_co_u32_e32 v1, vcc, s2, v1
	s_addc_u32 s37, s37, 0
	v_addc_co_u32_e32 v2, vcc, v7, v2, vcc
	s_add_u32 s38, s38, 8
	s_addc_u32 s39, s39, 0
	v_cmp_ge_u64_e32 vcc, s[40:41], v[5:6]
	s_add_u32 s12, s12, 8
	s_addc_u32 s13, s13, 0
	s_mov_b64 s[2:3], s[0:1]
	s_cbranch_vccnz .LBB0_11
.LBB0_7:                                ; =>This Inner Loop Header: Depth=1
	s_load_dwordx2 s[44:45], s[12:13], 0x0
	s_waitcnt lgkmcnt(0)
	s_or_b64 s[0:1], s[2:3], s[44:45]
	s_mov_b32 s43, s1
	s_cmp_lg_u64 s[42:43], 0
	s_cbranch_scc0 .LBB0_9
; %bb.8:                                ;   in Loop: Header=BB0_7 Depth=1
	v_cvt_f32_u32_e32 v7, s44
	v_cvt_f32_u32_e32 v8, s45
	s_sub_u32 s0, 0, s44
	s_subb_u32 s1, 0, s45
	v_mac_f32_e32 v7, 0x4f800000, v8
	v_rcp_f32_e32 v7, v7
	v_mul_f32_e32 v7, 0x5f7ffffc, v7
	v_mul_f32_e32 v8, 0x2f800000, v7
	v_trunc_f32_e32 v8, v8
	v_mac_f32_e32 v7, 0xcf800000, v8
	v_cvt_u32_f32_e32 v8, v8
	v_cvt_u32_f32_e32 v7, v7
	v_readfirstlane_b32 s33, v8
	v_readfirstlane_b32 s43, v7
	s_mul_i32 s46, s0, s33
	s_mul_hi_u32 s48, s0, s43
	s_mul_i32 s47, s1, s43
	s_add_i32 s46, s48, s46
	s_mul_i32 s49, s0, s43
	s_add_i32 s46, s46, s47
	s_mul_hi_u32 s47, s43, s46
	s_mul_i32 s48, s43, s46
	s_mul_hi_u32 s43, s43, s49
	s_add_u32 s43, s43, s48
	s_addc_u32 s47, 0, s47
	s_mul_hi_u32 s50, s33, s49
	s_mul_i32 s49, s33, s49
	s_add_u32 s43, s43, s49
	s_mul_hi_u32 s48, s33, s46
	s_addc_u32 s43, s47, s50
	s_addc_u32 s47, s48, 0
	s_mul_i32 s46, s33, s46
	s_add_u32 s43, s43, s46
	s_addc_u32 s46, 0, s47
	v_add_co_u32_e32 v7, vcc, s43, v7
	s_cmp_lg_u64 vcc, 0
	s_addc_u32 s33, s33, s46
	v_readfirstlane_b32 s46, v7
	s_mul_i32 s43, s0, s33
	s_mul_hi_u32 s47, s0, s46
	s_add_i32 s43, s47, s43
	s_mul_i32 s1, s1, s46
	s_add_i32 s43, s43, s1
	s_mul_i32 s0, s0, s46
	s_mul_hi_u32 s47, s33, s0
	s_mul_i32 s48, s33, s0
	s_mul_i32 s50, s46, s43
	s_mul_hi_u32 s0, s46, s0
	s_mul_hi_u32 s49, s46, s43
	s_add_u32 s0, s0, s50
	s_addc_u32 s46, 0, s49
	s_add_u32 s0, s0, s48
	s_mul_hi_u32 s1, s33, s43
	s_addc_u32 s0, s46, s47
	s_addc_u32 s1, s1, 0
	s_mul_i32 s43, s33, s43
	s_add_u32 s0, s0, s43
	s_addc_u32 s1, 0, s1
	v_add_co_u32_e32 v7, vcc, s0, v7
	s_cmp_lg_u64 vcc, 0
	s_addc_u32 s0, s33, s1
	v_readfirstlane_b32 s43, v7
	s_mul_i32 s33, s2, s0
	s_mul_hi_u32 s46, s2, s43
	s_mul_hi_u32 s1, s2, s0
	s_add_u32 s33, s46, s33
	s_addc_u32 s1, 0, s1
	s_mul_hi_u32 s47, s3, s43
	s_mul_i32 s43, s3, s43
	s_add_u32 s33, s33, s43
	s_mul_hi_u32 s46, s3, s0
	s_addc_u32 s1, s1, s47
	s_addc_u32 s33, s46, 0
	s_mul_i32 s0, s3, s0
	s_add_u32 s43, s1, s0
	s_addc_u32 s33, 0, s33
	s_mul_i32 s0, s44, s33
	s_mul_hi_u32 s1, s44, s43
	s_add_i32 s0, s1, s0
	s_mul_i32 s1, s45, s43
	s_add_i32 s46, s0, s1
	s_mul_i32 s1, s44, s43
	v_mov_b32_e32 v7, s1
	s_sub_i32 s0, s3, s46
	v_sub_co_u32_e32 v7, vcc, s2, v7
	s_cmp_lg_u64 vcc, 0
	s_subb_u32 s47, s0, s45
	v_subrev_co_u32_e64 v8, s[0:1], s44, v7
	s_cmp_lg_u64 s[0:1], 0
	s_subb_u32 s0, s47, 0
	s_cmp_ge_u32 s0, s45
	v_readfirstlane_b32 s47, v8
	s_cselect_b32 s1, -1, 0
	s_cmp_ge_u32 s47, s44
	s_cselect_b32 s47, -1, 0
	s_cmp_eq_u32 s0, s45
	s_cselect_b32 s0, s47, s1
	s_add_u32 s1, s43, 1
	s_addc_u32 s47, s33, 0
	s_add_u32 s48, s43, 2
	s_addc_u32 s49, s33, 0
	s_cmp_lg_u32 s0, 0
	s_cselect_b32 s0, s48, s1
	s_cselect_b32 s1, s49, s47
	s_cmp_lg_u64 vcc, 0
	s_subb_u32 s46, s3, s46
	s_cmp_ge_u32 s46, s45
	v_readfirstlane_b32 s48, v7
	s_cselect_b32 s47, -1, 0
	s_cmp_ge_u32 s48, s44
	s_cselect_b32 s48, -1, 0
	s_cmp_eq_u32 s46, s45
	s_cselect_b32 s46, s48, s47
	s_cmp_lg_u32 s46, 0
	s_cselect_b32 s1, s1, s33
	s_cselect_b32 s0, s0, s43
	s_cbranch_execnz .LBB0_6
	s_branch .LBB0_10
.LBB0_9:                                ;   in Loop: Header=BB0_7 Depth=1
                                        ; implicit-def: $sgpr0_sgpr1
.LBB0_10:                               ;   in Loop: Header=BB0_7 Depth=1
	v_cvt_f32_u32_e32 v7, s44
	s_sub_i32 s0, 0, s44
	v_rcp_iflag_f32_e32 v7, v7
	v_mul_f32_e32 v7, 0x4f7ffffe, v7
	v_cvt_u32_f32_e32 v7, v7
	v_readfirstlane_b32 s1, v7
	s_mul_i32 s0, s0, s1
	s_mul_hi_u32 s0, s1, s0
	s_add_i32 s1, s1, s0
	s_mul_hi_u32 s0, s2, s1
	s_mul_i32 s33, s0, s44
	s_sub_i32 s33, s2, s33
	s_add_i32 s1, s0, 1
	s_sub_i32 s43, s33, s44
	s_cmp_ge_u32 s33, s44
	s_cselect_b32 s0, s1, s0
	s_cselect_b32 s33, s43, s33
	s_add_i32 s1, s0, 1
	s_cmp_ge_u32 s33, s44
	s_cselect_b32 s0, s1, s0
	s_mov_b32 s1, s42
	s_branch .LBB0_6
.LBB0_11:
	v_mov_b32_e32 v5, s34
	v_mov_b32_e32 v6, s35
	v_cmp_lt_u64_e32 vcc, s[6:7], v[5:6]
	s_mov_b64 s[2:3], 0
	s_cbranch_vccnz .LBB0_13
; %bb.12:
	v_cvt_f32_u32_e32 v5, s34
	s_sub_i32 s0, 0, s34
	v_rcp_iflag_f32_e32 v5, v5
	v_mul_f32_e32 v5, 0x4f7ffffe, v5
	v_cvt_u32_f32_e32 v5, v5
	v_readfirstlane_b32 s1, v5
	s_mul_i32 s0, s0, s1
	s_mul_hi_u32 s0, s1, s0
	s_add_i32 s1, s1, s0
	s_mul_hi_u32 s0, s6, s1
	s_mul_i32 s2, s0, s34
	s_sub_i32 s2, s6, s2
	s_add_i32 s1, s0, 1
	s_sub_i32 s3, s2, s34
	s_cmp_ge_u32 s2, s34
	s_cselect_b32 s0, s1, s0
	s_cselect_b32 s2, s3, s2
	s_add_i32 s1, s0, 1
	s_cmp_ge_u32 s2, s34
	s_cselect_b32 s2, s1, s0
.LBB0_13:
	s_lshl_b64 s[12:13], s[10:11], 3
	s_add_u32 s6, s28, s12
	s_addc_u32 s7, s29, s13
	s_add_u32 s0, s4, 4
	v_mov_b32_e32 v5, s30
	s_addc_u32 s1, s5, 0
	v_mov_b32_e32 v6, s31
	v_and_b32_e32 v10, 3, v0
	v_cmp_le_u64_e32 vcc, s[0:1], v[5:6]
	v_or_b32_e32 v5, s4, v10
	v_mov_b32_e32 v6, s5
	v_cmp_gt_u64_e64 s[0:1], s[30:31], v[5:6]
	v_lshrrev_b32_e32 v5, 2, v0
	s_or_b64 s[0:1], vcc, s[0:1]
	v_lshlrev_b32_e32 v8, 9, v10
	v_add_u32_e32 v9, 64, v5
	v_lshlrev_b32_e32 v6, 11, v10
	v_lshlrev_b32_e32 v7, 2, v5
	s_and_saveexec_b64 s[10:11], s[0:1]
	s_cbranch_execz .LBB0_15
; %bb.14:
	s_add_u32 s12, s14, s12
	s_addc_u32 s13, s15, s13
	s_load_dwordx2 s[12:13], s[12:13], 0x0
	v_mad_u64_u32 v[11:12], s[14:15], s26, v10, 0
	v_mad_u64_u32 v[13:14], s[14:15], s24, v5, 0
	s_waitcnt lgkmcnt(0)
	s_mul_i32 s3, s13, s2
	s_mul_hi_u32 s5, s12, s2
	v_mad_u64_u32 v[15:16], s[14:15], s27, v10, v[12:13]
	v_mov_b32_e32 v12, v14
	v_mad_u64_u32 v[16:17], s[14:15], s25, v5, v[12:13]
	s_add_i32 s13, s5, s3
	s_mul_i32 s12, s12, s2
	s_lshl_b64 s[12:13], s[12:13], 2
	s_add_u32 s3, s20, s12
	v_lshlrev_b64 v[3:4], 2, v[3:4]
	s_addc_u32 s5, s21, s13
	v_mov_b32_e32 v12, v15
	v_mov_b32_e32 v14, v16
	;; [unrolled: 1-line block ×3, first 2 shown]
	v_add_co_u32_e32 v16, vcc, s3, v3
	v_addc_co_u32_e32 v15, vcc, v15, v4, vcc
	v_lshlrev_b64 v[3:4], 2, v[11:12]
	v_mad_u64_u32 v[11:12], s[12:13], s24, v9, 0
	v_add_co_u32_e32 v26, vcc, v16, v3
	v_addc_co_u32_e32 v27, vcc, v15, v4, vcc
	v_lshlrev_b64 v[3:4], 2, v[13:14]
	v_mad_u64_u32 v[12:13], s[12:13], s25, v9, v[12:13]
	v_add_u32_e32 v15, 0x80, v5
	v_mad_u64_u32 v[13:14], s[12:13], s24, v15, 0
	v_add_u32_e32 v17, 0xc0, v5
	v_or_b32_e32 v19, 0x100, v5
	v_mad_u64_u32 v[14:15], s[12:13], s25, v15, v[14:15]
	v_mad_u64_u32 v[15:16], s[12:13], s24, v17, 0
	v_add_u32_e32 v21, 0x140, v5
	v_add_u32_e32 v23, 0x180, v5
	v_mad_u64_u32 v[16:17], s[12:13], s25, v17, v[16:17]
	v_mad_u64_u32 v[17:18], s[12:13], s24, v19, 0
	v_add_co_u32_e32 v3, vcc, v26, v3
	v_mad_u64_u32 v[18:19], s[12:13], s25, v19, v[18:19]
	v_mad_u64_u32 v[19:20], s[12:13], s24, v21, 0
	v_lshlrev_b64 v[11:12], 2, v[11:12]
	v_addc_co_u32_e32 v4, vcc, v27, v4, vcc
	v_mad_u64_u32 v[20:21], s[12:13], s25, v21, v[20:21]
	v_mad_u64_u32 v[21:22], s[12:13], s24, v23, 0
	v_add_co_u32_e32 v11, vcc, v26, v11
	v_lshlrev_b64 v[13:14], 2, v[13:14]
	v_addc_co_u32_e32 v12, vcc, v27, v12, vcc
	v_mad_u64_u32 v[22:23], s[12:13], s25, v23, v[22:23]
	v_add_u32_e32 v25, 0x1c0, v5
	v_add_co_u32_e32 v13, vcc, v26, v13
	v_lshlrev_b64 v[15:16], 2, v[15:16]
	v_mad_u64_u32 v[23:24], s[12:13], s24, v25, 0
	v_addc_co_u32_e32 v14, vcc, v27, v14, vcc
	v_add_co_u32_e32 v15, vcc, v26, v15
	v_lshlrev_b64 v[17:18], 2, v[17:18]
	v_addc_co_u32_e32 v16, vcc, v27, v16, vcc
	v_add_co_u32_e32 v17, vcc, v26, v17
	v_lshlrev_b64 v[19:20], 2, v[19:20]
	v_mad_u64_u32 v[24:25], s[12:13], s25, v25, v[24:25]
	v_addc_co_u32_e32 v18, vcc, v27, v18, vcc
	v_add_co_u32_e32 v19, vcc, v26, v19
	v_lshlrev_b64 v[21:22], 2, v[21:22]
	v_addc_co_u32_e32 v20, vcc, v27, v20, vcc
	v_add_co_u32_e32 v21, vcc, v26, v21
	v_lshlrev_b64 v[23:24], 2, v[23:24]
	v_addc_co_u32_e32 v22, vcc, v27, v22, vcc
	v_add_co_u32_e32 v23, vcc, v26, v23
	v_addc_co_u32_e32 v24, vcc, v27, v24, vcc
	global_load_dword v25, v[3:4], off
	global_load_dword v26, v[11:12], off
	;; [unrolled: 1-line block ×8, first 2 shown]
	v_or_b32_e32 v3, v8, v5
	v_lshl_add_u32 v3, v3, 2, 0
	s_waitcnt vmcnt(7)
	ds_write_b32 v3, v25
	v_add_u32_e32 v3, v8, v5
	v_lshl_add_u32 v3, v3, 2, 0
	s_waitcnt vmcnt(5)
	ds_write2st64_b32 v3, v26, v27 offset0:1 offset1:2
	s_waitcnt vmcnt(3)
	ds_write2st64_b32 v3, v28, v29 offset0:3 offset1:4
	v_add3_u32 v3, 0, v6, v7
	s_waitcnt vmcnt(1)
	ds_write2st64_b32 v3, v30, v31 offset0:5 offset1:6
	s_waitcnt vmcnt(0)
	ds_write_b32 v3, v32 offset:1792
.LBB0_15:
	s_or_b64 exec, exec, s[10:11]
	v_lshrrev_b32_e32 v24, 6, v0
	v_and_b32_e32 v25, 63, v0
	v_lshlrev_b32_e32 v3, 11, v24
	v_add_u32_e32 v26, 0, v3
	v_lshlrev_b32_e32 v11, 2, v25
	v_add_u32_e32 v4, v26, v11
	s_load_dwordx2 s[6:7], s[6:7], 0x0
	s_waitcnt lgkmcnt(0)
	s_barrier
	v_add3_u32 v3, 0, v11, v3
	ds_read_b32 v17, v4
	ds_read2st64_b32 v[11:12], v3 offset0:3 offset1:4
	ds_read2st64_b32 v[13:14], v3 offset0:5 offset1:6
	ds_read_b32 v18, v3 offset:1792
	ds_read2st64_b32 v[15:16], v3 offset0:1 offset1:2
	s_mov_b32 s3, 0xb9a8
	s_waitcnt lgkmcnt(3)
	v_pk_add_f16 v12, v17, v12 neg_lo:[0,1] neg_hi:[0,1]
	v_lshrrev_b32_e32 v21, 16, v12
	s_waitcnt lgkmcnt(1)
	v_pk_add_f16 v18, v11, v18 neg_lo:[0,1] neg_hi:[0,1]
	s_waitcnt lgkmcnt(0)
	v_pk_add_f16 v13, v15, v13 neg_lo:[0,1] neg_hi:[0,1]
	v_pk_add_f16 v14, v16, v14 neg_lo:[0,1] neg_hi:[0,1]
	v_lshrrev_b32_e32 v23, 16, v13
	v_pk_fma_f16 v16, v16, 2.0, v14 op_sel_hi:[1,0,1] neg_lo:[0,0,1] neg_hi:[0,0,1]
	v_pk_fma_f16 v11, v11, 2.0, v18 op_sel_hi:[1,0,1] neg_lo:[0,0,1] neg_hi:[0,0,1]
	v_sub_f16_sdwa v20, v12, v14 dst_sel:DWORD dst_unused:UNUSED_PAD src0_sel:DWORD src1_sel:WORD_1
	v_add_f16_e32 v14, v21, v14
	v_sub_f16_sdwa v22, v13, v18 dst_sel:DWORD dst_unused:UNUSED_PAD src0_sel:DWORD src1_sel:WORD_1
	v_add_f16_e32 v18, v23, v18
	v_pk_fma_f16 v17, v17, 2.0, v12 op_sel_hi:[1,0,1] neg_lo:[0,0,1] neg_hi:[0,0,1]
	v_pk_fma_f16 v15, v15, 2.0, v13 op_sel_hi:[1,0,1] neg_lo:[0,0,1] neg_hi:[0,0,1]
	v_fma_f16 v12, v12, 2.0, -v20
	v_fma_f16 v21, v21, 2.0, -v14
	;; [unrolled: 1-line block ×4, first 2 shown]
	v_pk_add_f16 v16, v17, v16 neg_lo:[0,1] neg_hi:[0,1]
	v_pk_add_f16 v11, v15, v11 neg_lo:[0,1] neg_hi:[0,1]
	v_fma_f16 v27, v13, s3, v12
	v_fma_f16 v28, v23, s3, v21
	s_movk_i32 s5, 0x39a8
	v_pk_fma_f16 v17, v17, 2.0, v16 op_sel_hi:[1,0,1] neg_lo:[0,0,1] neg_hi:[0,0,1]
	v_pk_fma_f16 v15, v15, 2.0, v11 op_sel_hi:[1,0,1] neg_lo:[0,0,1] neg_hi:[0,0,1]
	v_fma_f16 v23, v23, s3, v27
	v_fma_f16 v13, v13, s5, v28
	v_lshrrev_b32_e32 v28, 16, v16
	v_fma_f16 v29, v22, s5, v20
	v_fma_f16 v30, v18, s5, v14
	v_pk_add_f16 v15, v17, v15 neg_lo:[0,1] neg_hi:[0,1]
	v_fma_f16 v12, v12, 2.0, -v23
	v_fma_f16 v21, v21, 2.0, -v13
	v_sub_f16_sdwa v27, v16, v11 dst_sel:DWORD dst_unused:UNUSED_PAD src0_sel:DWORD src1_sel:WORD_1
	v_add_f16_e32 v11, v28, v11
	v_fma_f16 v18, v18, s3, v29
	v_fma_f16 v22, v22, s5, v30
	v_mad_u32_u24 v19, v25, 28, v3
	v_pk_fma_f16 v17, v17, 2.0, v15 op_sel_hi:[1,0,1] neg_lo:[0,0,1] neg_hi:[0,0,1]
	v_fma_f16 v16, v16, 2.0, -v27
	v_fma_f16 v28, v28, 2.0, -v11
	;; [unrolled: 1-line block ×4, first 2 shown]
	v_pack_b32_f16 v12, v12, v21
	s_barrier
	ds_write2_b32 v19, v17, v12 offset1:1
	v_pack_b32_f16 v12, v20, v14
	v_pack_b32_f16 v14, v16, v28
	ds_write2_b32 v19, v14, v12 offset0:2 offset1:3
	v_pack_b32_f16 v12, v23, v13
	ds_write2_b32 v19, v15, v12 offset0:4 offset1:5
	v_pack_b32_f16 v12, v18, v22
	v_pack_b32_f16 v11, v27, v11
	v_and_b32_e32 v27, 7, v0
	ds_write2_b32 v19, v11, v12 offset0:6 offset1:7
	v_mul_u32_u24_e32 v11, 7, v27
	v_lshlrev_b32_e32 v18, 2, v11
	s_waitcnt lgkmcnt(0)
	s_barrier
	global_load_dwordx4 v[11:14], v18, s[8:9]
	global_load_dwordx3 v[15:17], v18, s[8:9] offset:16
	ds_read2st64_b32 v[18:19], v3 offset0:1 offset1:2
	ds_read2st64_b32 v[20:21], v3 offset0:3 offset1:4
	;; [unrolled: 1-line block ×3, first 2 shown]
	ds_read_u16 v28, v3 offset:1538
	ds_read_b32 v29, v3 offset:1792
	s_waitcnt lgkmcnt(4)
	v_lshrrev_b32_e32 v30, 16, v18
	s_waitcnt lgkmcnt(3)
	v_lshrrev_b32_e32 v32, 16, v20
	v_lshrrev_b32_e32 v31, 16, v19
	v_lshlrev_b32_e32 v0, 3, v0
	s_movk_i32 s10, 0x1c0
	v_and_or_b32 v0, v0, s10, v27
	v_lshl_add_u32 v0, v0, 2, v26
	v_add_u32_e32 v24, s4, v24
	s_add_i32 s4, 0, 0x2000
	s_waitcnt vmcnt(1)
	v_mul_f16_sdwa v33, v11, v30 dst_sel:DWORD dst_unused:UNUSED_PAD src0_sel:WORD_1 src1_sel:DWORD
	v_mul_f16_sdwa v34, v11, v18 dst_sel:DWORD dst_unused:UNUSED_PAD src0_sel:WORD_1 src1_sel:DWORD
	;; [unrolled: 1-line block ×3, first 2 shown]
	v_fma_f16 v18, v11, v18, -v33
	v_fma_f16 v11, v11, v30, v34
	v_fma_f16 v30, v13, v20, -v37
	v_mul_f16_sdwa v20, v13, v20 dst_sel:DWORD dst_unused:UNUSED_PAD src0_sel:WORD_1 src1_sel:DWORD
	v_mul_f16_sdwa v35, v12, v31 dst_sel:DWORD dst_unused:UNUSED_PAD src0_sel:WORD_1 src1_sel:DWORD
	;; [unrolled: 1-line block ×3, first 2 shown]
	v_fma_f16 v13, v13, v32, v20
	v_lshrrev_b32_e32 v20, 16, v21
	v_fma_f16 v19, v12, v19, -v35
	v_fma_f16 v12, v12, v31, v36
	v_mul_f16_sdwa v31, v14, v20 dst_sel:DWORD dst_unused:UNUSED_PAD src0_sel:WORD_1 src1_sel:DWORD
	v_fma_f16 v31, v14, v21, -v31
	v_mul_f16_sdwa v21, v14, v21 dst_sel:DWORD dst_unused:UNUSED_PAD src0_sel:WORD_1 src1_sel:DWORD
	ds_read_b32 v32, v4
	v_fma_f16 v14, v14, v20, v21
	s_waitcnt lgkmcnt(3)
	v_lshrrev_b32_e32 v21, 16, v22
	s_waitcnt vmcnt(0)
	v_mul_f16_sdwa v33, v15, v21 dst_sel:DWORD dst_unused:UNUSED_PAD src0_sel:WORD_1 src1_sel:DWORD
	v_fma_f16 v33, v15, v22, -v33
	v_mul_f16_sdwa v22, v15, v22 dst_sel:DWORD dst_unused:UNUSED_PAD src0_sel:WORD_1 src1_sel:DWORD
	s_waitcnt lgkmcnt(1)
	v_lshrrev_b32_e32 v20, 16, v29
	v_fma_f16 v15, v15, v21, v22
	v_mul_f16_sdwa v21, v28, v16 dst_sel:DWORD dst_unused:UNUSED_PAD src0_sel:DWORD src1_sel:WORD_1
	v_mul_f16_sdwa v22, v16, v23 dst_sel:DWORD dst_unused:UNUSED_PAD src0_sel:WORD_1 src1_sel:DWORD
	v_fma_f16 v21, v16, v23, -v21
	v_fma_f16 v16, v28, v16, v22
	v_mul_f16_sdwa v22, v20, v17 dst_sel:DWORD dst_unused:UNUSED_PAD src0_sel:DWORD src1_sel:WORD_1
	v_mul_f16_sdwa v23, v29, v17 dst_sel:DWORD dst_unused:UNUSED_PAD src0_sel:DWORD src1_sel:WORD_1
	v_fma_f16 v22, v29, v17, -v22
	v_fma_f16 v17, v20, v17, v23
	s_waitcnt lgkmcnt(0)
	v_lshrrev_b32_e32 v20, 16, v32
	v_sub_f16_e32 v23, v32, v31
	v_sub_f16_e32 v14, v20, v14
	;; [unrolled: 1-line block ×8, first 2 shown]
	v_fma_f16 v28, v32, 2.0, -v23
	v_fma_f16 v20, v20, 2.0, -v14
	;; [unrolled: 1-line block ×8, first 2 shown]
	v_sub_f16_e32 v16, v23, v16
	v_add_f16_e32 v21, v14, v21
	v_sub_f16_e32 v17, v29, v17
	v_add_f16_e32 v22, v15, v22
	v_sub_f16_e32 v19, v28, v19
	v_sub_f16_e32 v12, v20, v12
	v_fma_f16 v23, v23, 2.0, -v16
	v_fma_f16 v14, v14, 2.0, -v21
	v_sub_f16_e32 v30, v18, v30
	v_sub_f16_e32 v13, v11, v13
	v_fma_f16 v29, v29, 2.0, -v17
	v_fma_f16 v15, v15, 2.0, -v22
	v_fma_f16 v28, v28, 2.0, -v19
	v_fma_f16 v20, v20, 2.0, -v12
	v_fma_f16 v18, v18, 2.0, -v30
	v_fma_f16 v11, v11, 2.0, -v13
	v_fma_f16 v31, v29, s3, v23
	v_fma_f16 v32, v15, s3, v14
	v_sub_f16_e32 v18, v28, v18
	v_sub_f16_e32 v11, v20, v11
	v_fma_f16 v15, v15, s3, v31
	v_fma_f16 v29, v29, s5, v32
	;; [unrolled: 1-line block ×4, first 2 shown]
	v_fma_f16 v28, v28, 2.0, -v18
	v_fma_f16 v20, v20, 2.0, -v11
	;; [unrolled: 1-line block ×4, first 2 shown]
	v_sub_f16_e32 v13, v19, v13
	v_add_f16_e32 v30, v12, v30
	v_fma_f16 v22, v22, s3, v31
	v_fma_f16 v17, v17, s5, v32
	v_fma_f16 v19, v19, 2.0, -v13
	v_fma_f16 v12, v12, 2.0, -v30
	;; [unrolled: 1-line block ×4, first 2 shown]
	v_pack_b32_f16 v20, v28, v20
	v_pack_b32_f16 v14, v23, v14
	s_barrier
	ds_write2_b32 v0, v20, v14 offset1:8
	v_pack_b32_f16 v12, v19, v12
	v_pack_b32_f16 v14, v16, v21
	ds_write2_b32 v0, v12, v14 offset0:16 offset1:24
	v_pack_b32_f16 v11, v18, v11
	v_pack_b32_f16 v12, v15, v29
	ds_write2_b32 v0, v11, v12 offset0:32 offset1:40
	;; [unrolled: 3-line block ×3, first 2 shown]
	v_mul_u32_u24_e32 v0, 7, v25
	v_lshlrev_b32_e32 v0, 2, v0
	s_waitcnt lgkmcnt(0)
	s_barrier
	global_load_dwordx4 v[11:14], v0, s[8:9] offset:224
	global_load_dwordx3 v[15:17], v0, s[8:9] offset:240
	ds_read_b32 v0, v3 offset:1792
	ds_read2st64_b32 v[18:19], v3 offset0:1 offset1:2
	ds_read2st64_b32 v[20:21], v3 offset0:3 offset1:4
	;; [unrolled: 1-line block ×3, first 2 shown]
	v_mul_lo_u32 v25, v24, v25
	v_lshlrev_b32_e32 v24, 6, v24
	s_waitcnt lgkmcnt(2)
	v_lshrrev_b32_e32 v27, 16, v18
	v_lshrrev_b32_e32 v26, 16, v0
	v_add_u32_e32 v29, v25, v24
	v_add_u32_e32 v30, v29, v24
	;; [unrolled: 1-line block ×7, first 2 shown]
	v_and_b32_e32 v35, 31, v24
	v_lshl_add_u32 v35, v35, 2, 0
	v_lshrrev_b32_e32 v36, 3, v25
	v_lshrrev_b32_e32 v39, 3, v29
	v_and_b32_e32 v36, 0x7c, v36
	ds_read_b32 v37, v35 offset:8192
	v_and_b32_e32 v38, 31, v29
	v_and_b32_e32 v39, 0x7c, v39
	v_add_u32_e32 v36, s4, v36
	v_lshl_add_u32 v38, v38, 2, 0
	v_add_u32_e32 v39, s4, v39
	s_waitcnt vmcnt(1)
	v_mul_f16_sdwa v28, v11, v27 dst_sel:DWORD dst_unused:UNUSED_PAD src0_sel:WORD_1 src1_sel:DWORD
	v_fma_f16 v28, v11, v18, -v28
	v_mul_f16_sdwa v18, v11, v18 dst_sel:DWORD dst_unused:UNUSED_PAD src0_sel:WORD_1 src1_sel:DWORD
	v_fma_f16 v11, v11, v27, v18
	v_lshrrev_b32_e32 v18, 16, v19
	v_mul_f16_sdwa v27, v12, v18 dst_sel:DWORD dst_unused:UNUSED_PAD src0_sel:WORD_1 src1_sel:DWORD
	v_fma_f16 v27, v12, v19, -v27
	v_mul_f16_sdwa v19, v12, v19 dst_sel:DWORD dst_unused:UNUSED_PAD src0_sel:WORD_1 src1_sel:DWORD
	v_fma_f16 v12, v12, v18, v19
	s_waitcnt lgkmcnt(2)
	v_lshrrev_b32_e32 v18, 16, v20
	v_mul_f16_sdwa v19, v13, v18 dst_sel:DWORD dst_unused:UNUSED_PAD src0_sel:WORD_1 src1_sel:DWORD
	v_fma_f16 v19, v13, v20, -v19
	v_mul_f16_sdwa v20, v13, v20 dst_sel:DWORD dst_unused:UNUSED_PAD src0_sel:WORD_1 src1_sel:DWORD
	v_fma_f16 v13, v13, v18, v20
	v_lshrrev_b32_e32 v18, 16, v21
	v_mul_f16_sdwa v20, v14, v18 dst_sel:DWORD dst_unused:UNUSED_PAD src0_sel:WORD_1 src1_sel:DWORD
	v_fma_f16 v20, v14, v21, -v20
	v_mul_f16_sdwa v21, v14, v21 dst_sel:DWORD dst_unused:UNUSED_PAD src0_sel:WORD_1 src1_sel:DWORD
	v_fma_f16 v14, v14, v18, v21
	s_waitcnt lgkmcnt(1)
	v_lshrrev_b32_e32 v18, 16, v22
	s_waitcnt vmcnt(0)
	v_mul_f16_sdwa v21, v15, v18 dst_sel:DWORD dst_unused:UNUSED_PAD src0_sel:WORD_1 src1_sel:DWORD
	v_fma_f16 v21, v15, v22, -v21
	v_mul_f16_sdwa v22, v15, v22 dst_sel:DWORD dst_unused:UNUSED_PAD src0_sel:WORD_1 src1_sel:DWORD
	v_fma_f16 v15, v15, v18, v22
	v_lshrrev_b32_e32 v18, 16, v23
	v_mul_f16_sdwa v22, v16, v18 dst_sel:DWORD dst_unused:UNUSED_PAD src0_sel:WORD_1 src1_sel:DWORD
	v_fma_f16 v22, v16, v23, -v22
	v_mul_f16_sdwa v23, v16, v23 dst_sel:DWORD dst_unused:UNUSED_PAD src0_sel:WORD_1 src1_sel:DWORD
	v_fma_f16 v16, v16, v18, v23
	v_and_b32_e32 v23, 31, v25
	v_lshrrev_b32_e32 v25, 8, v25
	v_and_b32_e32 v25, 0x7c, v25
	v_lshl_add_u32 v23, v23, 2, 0
	v_add_u32_e32 v25, s4, v25
	ds_read_b32 v25, v25 offset:256
	ds_read_b32 v39, v39 offset:128
	ds_read_u16 v40, v38 offset:8194
	ds_read_u16 v38, v38 offset:8192
	ds_read_b32 v36, v36 offset:128
	ds_read_u16 v35, v35 offset:8194
	ds_read_u16 v23, v23 offset:8192
	v_mul_f16_sdwa v18, v26, v17 dst_sel:DWORD dst_unused:UNUSED_PAD src0_sel:DWORD src1_sel:WORD_1
	v_fma_f16 v18, v0, v17, -v18
	v_mul_f16_sdwa v0, v0, v17 dst_sel:DWORD dst_unused:UNUSED_PAD src0_sel:DWORD src1_sel:WORD_1
	v_fma_f16 v0, v26, v17, v0
	s_waitcnt lgkmcnt(7)
	v_lshrrev_b32_e32 v17, 16, v37
	s_waitcnt lgkmcnt(2)
	v_mul_f16_sdwa v26, v17, v36 dst_sel:DWORD dst_unused:UNUSED_PAD src0_sel:DWORD src1_sel:WORD_1
	ds_read_b32 v4, v4
	s_waitcnt lgkmcnt(1)
	v_fma_f16 v26, v23, v36, -v26
	v_mul_f16_sdwa v23, v23, v36 dst_sel:DWORD dst_unused:UNUSED_PAD src0_sel:DWORD src1_sel:WORD_1
	v_fma_f16 v17, v17, v36, v23
	v_mul_f16_sdwa v23, v17, v25 dst_sel:DWORD dst_unused:UNUSED_PAD src0_sel:DWORD src1_sel:WORD_1
	v_fma_f16 v23, v25, v26, -v23
	v_mul_f16_sdwa v26, v26, v25 dst_sel:DWORD dst_unused:UNUSED_PAD src0_sel:DWORD src1_sel:WORD_1
	v_fma_f16 v17, v25, v17, v26
	s_waitcnt lgkmcnt(0)
	v_lshrrev_b32_e32 v25, 16, v4
	v_sub_f16_e32 v14, v25, v14
	v_sub_f16_e32 v16, v12, v16
	;; [unrolled: 1-line block ×5, first 2 shown]
	v_fma_f16 v25, v25, 2.0, -v14
	v_sub_f16_e32 v22, v27, v22
	v_fma_f16 v12, v12, 2.0, -v16
	v_sub_f16_e32 v21, v28, v21
	;; [unrolled: 2-line block ×3, first 2 shown]
	v_fma_f16 v13, v13, 2.0, -v0
	v_fma_f16 v4, v4, 2.0, -v20
	;; [unrolled: 1-line block ×5, first 2 shown]
	v_sub_f16_e32 v12, v25, v12
	v_sub_f16_e32 v13, v11, v13
	;; [unrolled: 1-line block ×3, first 2 shown]
	v_fma_f16 v25, v25, 2.0, -v12
	v_sub_f16_e32 v19, v27, v19
	v_fma_f16 v11, v11, 2.0, -v13
	v_fma_f16 v4, v4, 2.0, -v26
	;; [unrolled: 1-line block ×3, first 2 shown]
	v_sub_f16_e32 v11, v25, v11
	v_sub_f16_e32 v27, v4, v27
	v_fma_f16 v25, v25, 2.0, -v11
	v_fma_f16 v4, v4, 2.0, -v27
	v_mul_f16_e32 v28, v25, v17
	v_fma_f16 v28, v4, v23, -v28
	v_mul_f16_e32 v4, v4, v17
	v_fma_f16 v4, v25, v23, v4
	v_lshrrev_b32_e32 v25, 8, v29
	v_and_b32_e32 v25, 0x7c, v25
	v_add_u32_e32 v25, s4, v25
	ds_read_b32 v25, v25 offset:256
	v_mul_f16_sdwa v17, v40, v39 dst_sel:DWORD dst_unused:UNUSED_PAD src0_sel:DWORD src1_sel:WORD_1
	v_mul_f16_sdwa v23, v38, v39 dst_sel:DWORD dst_unused:UNUSED_PAD src0_sel:DWORD src1_sel:WORD_1
	v_fma_f16 v17, v38, v39, -v17
	v_fma_f16 v23, v40, v39, v23
	v_and_b32_e32 v29, 31, v30
	v_lshrrev_b32_e32 v36, 3, v30
	v_lshrrev_b32_e32 v30, 8, v30
	;; [unrolled: 1-line block ×3, first 2 shown]
	v_and_b32_e32 v36, 0x7c, v36
	v_and_b32_e32 v30, 0x7c, v30
	;; [unrolled: 1-line block ×4, first 2 shown]
	s_waitcnt lgkmcnt(0)
	v_mul_f16_sdwa v42, v23, v25 dst_sel:DWORD dst_unused:UNUSED_PAD src0_sel:DWORD src1_sel:WORD_1
	v_sub_f16_e32 v16, v20, v16
	v_sub_f16_e32 v0, v21, v0
	v_lshl_add_u32 v29, v29, 2, 0
	v_add_u32_e32 v36, s4, v36
	v_add_u32_e32 v30, s4, v30
	v_lshl_add_u32 v38, v38, 2, 0
	v_add_u32_e32 v39, s4, v39
	v_fma_f16 v42, v25, v17, -v42
	v_mul_f16_sdwa v17, v17, v25 dst_sel:DWORD dst_unused:UNUSED_PAD src0_sel:DWORD src1_sel:WORD_1
	v_add_f16_e32 v22, v14, v22
	v_fma_f16 v20, v20, 2.0, -v16
	v_add_f16_e32 v18, v15, v18
	v_fma_f16 v21, v21, 2.0, -v0
	ds_read_b32 v36, v36 offset:128
	ds_read_b32 v30, v30 offset:256
	;; [unrolled: 1-line block ×3, first 2 shown]
	ds_read_u16 v40, v38 offset:8194
	ds_read_u16 v38, v38 offset:8192
	;; [unrolled: 1-line block ×4, first 2 shown]
	v_fma_f16 v17, v25, v23, v17
	v_fma_f16 v14, v14, 2.0, -v22
	v_fma_f16 v15, v15, 2.0, -v18
	v_fma_f16 v23, v21, s3, v20
	v_fma_f16 v23, v15, s3, v23
	;; [unrolled: 1-line block ×4, first 2 shown]
	v_fma_f16 v14, v14, 2.0, -v15
	v_fma_f16 v20, v20, 2.0, -v23
	v_mul_f16_e32 v21, v14, v17
	v_fma_f16 v21, v20, v42, -v21
	v_mul_f16_e32 v17, v20, v17
	s_waitcnt lgkmcnt(0)
	v_mul_f16_sdwa v20, v29, v36 dst_sel:DWORD dst_unused:UNUSED_PAD src0_sel:DWORD src1_sel:WORD_1
	v_fma_f16 v14, v14, v42, v17
	v_mul_f16_sdwa v17, v41, v36 dst_sel:DWORD dst_unused:UNUSED_PAD src0_sel:DWORD src1_sel:WORD_1
	v_fma_f16 v20, v41, v36, v20
	v_fma_f16 v17, v29, v36, -v17
	v_mul_f16_sdwa v25, v20, v30 dst_sel:DWORD dst_unused:UNUSED_PAD src0_sel:DWORD src1_sel:WORD_1
	v_fma_f16 v25, v30, v17, -v25
	v_mul_f16_sdwa v17, v17, v30 dst_sel:DWORD dst_unused:UNUSED_PAD src0_sel:DWORD src1_sel:WORD_1
	v_sub_f16_e32 v13, v26, v13
	v_add_f16_e32 v19, v12, v19
	v_fma_f16 v17, v30, v20, v17
	v_fma_f16 v20, v26, 2.0, -v13
	v_fma_f16 v12, v12, 2.0, -v19
	v_mul_f16_e32 v26, v12, v17
	v_mul_f16_e32 v17, v20, v17
	v_fma_f16 v26, v20, v25, -v26
	v_fma_f16 v12, v12, v25, v17
	v_lshrrev_b32_e32 v25, 8, v31
	v_and_b32_e32 v25, 0x7c, v25
	v_add_u32_e32 v25, s4, v25
	ds_read_b32 v25, v25 offset:256
	v_mul_f16_sdwa v20, v38, v39 dst_sel:DWORD dst_unused:UNUSED_PAD src0_sel:DWORD src1_sel:WORD_1
	v_mul_f16_sdwa v17, v40, v39 dst_sel:DWORD dst_unused:UNUSED_PAD src0_sel:DWORD src1_sel:WORD_1
	v_fma_f16 v20, v40, v39, v20
	v_fma_f16 v17, v38, v39, -v17
	v_lshrrev_b32_e32 v30, 3, v32
	v_lshrrev_b32_e32 v31, 8, v32
	;; [unrolled: 1-line block ×3, first 2 shown]
	s_waitcnt lgkmcnt(0)
	v_mul_f16_sdwa v40, v20, v25 dst_sel:DWORD dst_unused:UNUSED_PAD src0_sel:DWORD src1_sel:WORD_1
	v_and_b32_e32 v29, 31, v32
	v_and_b32_e32 v30, 0x7c, v30
	;; [unrolled: 1-line block ×5, first 2 shown]
	v_fma_f16 v40, v25, v17, -v40
	v_mul_f16_sdwa v17, v17, v25 dst_sel:DWORD dst_unused:UNUSED_PAD src0_sel:DWORD src1_sel:WORD_1
	v_lshl_add_u32 v29, v29, 2, 0
	v_add_u32_e32 v30, s4, v30
	v_add_u32_e32 v31, s4, v31
	v_lshl_add_u32 v32, v32, 2, 0
	v_add_u32_e32 v36, s4, v36
	v_fma_f16 v17, v25, v20, v17
	v_fma_f16 v20, v0, s5, v16
	ds_read_b32 v30, v30 offset:128
	ds_read_b32 v31, v31 offset:256
	ds_read_u16 v38, v32 offset:8192
	ds_read_u16 v32, v32 offset:8194
	ds_read_b32 v36, v36 offset:128
	ds_read_u16 v39, v29 offset:8194
	ds_read_u16 v29, v29 offset:8192
	v_fma_f16 v20, v18, s3, v20
	v_fma_f16 v18, v18, s5, v22
	;; [unrolled: 1-line block ×3, first 2 shown]
	v_fma_f16 v18, v22, 2.0, -v0
	v_fma_f16 v16, v16, 2.0, -v20
	v_mul_f16_e32 v22, v18, v17
	v_fma_f16 v22, v16, v40, -v22
	v_mul_f16_e32 v16, v16, v17
	v_fma_f16 v16, v18, v40, v16
	s_waitcnt lgkmcnt(0)
	v_mul_f16_sdwa v18, v29, v30 dst_sel:DWORD dst_unused:UNUSED_PAD src0_sel:DWORD src1_sel:WORD_1
	v_mul_f16_sdwa v17, v39, v30 dst_sel:DWORD dst_unused:UNUSED_PAD src0_sel:DWORD src1_sel:WORD_1
	v_fma_f16 v18, v39, v30, v18
	v_fma_f16 v17, v29, v30, -v17
	v_mul_f16_sdwa v25, v18, v31 dst_sel:DWORD dst_unused:UNUSED_PAD src0_sel:DWORD src1_sel:WORD_1
	v_fma_f16 v25, v31, v17, -v25
	v_mul_f16_sdwa v17, v17, v31 dst_sel:DWORD dst_unused:UNUSED_PAD src0_sel:DWORD src1_sel:WORD_1
	v_fma_f16 v17, v31, v18, v17
	v_mul_f16_e32 v18, v11, v17
	v_mul_f16_e32 v17, v27, v17
	v_fma_f16 v18, v27, v25, -v18
	v_fma_f16 v11, v11, v25, v17
	v_mul_f16_sdwa v25, v38, v36 dst_sel:DWORD dst_unused:UNUSED_PAD src0_sel:DWORD src1_sel:WORD_1
	v_mul_f16_sdwa v17, v32, v36 dst_sel:DWORD dst_unused:UNUSED_PAD src0_sel:DWORD src1_sel:WORD_1
	v_fma_f16 v25, v32, v36, v25
	v_lshrrev_b32_e32 v27, 8, v33
	v_lshrrev_b32_e32 v30, 3, v34
	;; [unrolled: 1-line block ×5, first 2 shown]
	v_and_b32_e32 v27, 0x7c, v27
	v_and_b32_e32 v29, 31, v34
	;; [unrolled: 1-line block ×6, first 2 shown]
	v_add_u32_e32 v27, s4, v27
	v_lshl_add_u32 v29, v29, 2, 0
	v_add_u32_e32 v30, s4, v30
	v_add_u32_e32 v31, s4, v31
	;; [unrolled: 1-line block ×4, first 2 shown]
	v_fma_f16 v17, v38, v36, -v17
	ds_read_b32 v27, v27 offset:256
	ds_read_u16 v33, v29 offset:8192
	ds_read_u16 v29, v29 offset:8194
	ds_read_b32 v30, v30 offset:128
	ds_read_b32 v31, v31 offset:256
	;; [unrolled: 1-line block ×4, first 2 shown]
	s_waitcnt lgkmcnt(6)
	v_mul_f16_sdwa v34, v25, v27 dst_sel:DWORD dst_unused:UNUSED_PAD src0_sel:DWORD src1_sel:WORD_1
	v_fma_f16 v34, v27, v17, -v34
	v_mul_f16_sdwa v17, v17, v27 dst_sel:DWORD dst_unused:UNUSED_PAD src0_sel:DWORD src1_sel:WORD_1
	v_fma_f16 v17, v27, v25, v17
	v_mul_f16_e32 v25, v15, v17
	v_fma_f16 v25, v23, v34, -v25
	v_mul_f16_e32 v17, v23, v17
	s_waitcnt lgkmcnt(3)
	v_mul_f16_sdwa v23, v33, v30 dst_sel:DWORD dst_unused:UNUSED_PAD src0_sel:DWORD src1_sel:WORD_1
	v_fma_f16 v15, v15, v34, v17
	v_mul_f16_sdwa v17, v29, v30 dst_sel:DWORD dst_unused:UNUSED_PAD src0_sel:DWORD src1_sel:WORD_1
	v_fma_f16 v23, v29, v30, v23
	v_fma_f16 v17, v33, v30, -v17
	s_waitcnt lgkmcnt(2)
	v_mul_f16_sdwa v27, v23, v31 dst_sel:DWORD dst_unused:UNUSED_PAD src0_sel:DWORD src1_sel:WORD_1
	v_fma_f16 v27, v31, v17, -v27
	v_mul_f16_sdwa v17, v17, v31 dst_sel:DWORD dst_unused:UNUSED_PAD src0_sel:DWORD src1_sel:WORD_1
	v_fma_f16 v17, v31, v23, v17
	v_mul_f16_e32 v23, v19, v17
	v_fma_f16 v23, v13, v27, -v23
	v_mul_f16_e32 v13, v13, v17
	v_fma_f16 v13, v19, v27, v13
	s_waitcnt lgkmcnt(1)
	v_mul_f16_sdwa v19, v37, v32 dst_sel:DWORD dst_unused:UNUSED_PAD src0_sel:DWORD src1_sel:WORD_1
	v_mul_f16_sdwa v17, v35, v32 dst_sel:DWORD dst_unused:UNUSED_PAD src0_sel:DWORD src1_sel:WORD_1
	v_fma_f16 v19, v35, v32, v19
	v_fma_f16 v17, v37, v32, -v17
	s_waitcnt lgkmcnt(0)
	v_mul_f16_sdwa v27, v19, v24 dst_sel:DWORD dst_unused:UNUSED_PAD src0_sel:DWORD src1_sel:WORD_1
	v_fma_f16 v27, v24, v17, -v27
	v_mul_f16_sdwa v17, v17, v24 dst_sel:DWORD dst_unused:UNUSED_PAD src0_sel:DWORD src1_sel:WORD_1
	v_fma_f16 v17, v24, v19, v17
	v_pack_b32_f16 v4, v28, v4
	v_pack_b32_f16 v14, v21, v14
	v_mul_f16_e32 v19, v0, v17
	v_mul_f16_e32 v17, v20, v17
	s_barrier
	ds_write2st64_b32 v3, v4, v14 offset1:1
	v_pack_b32_f16 v4, v26, v12
	v_pack_b32_f16 v12, v22, v16
	v_fma_f16 v19, v20, v27, -v19
	v_fma_f16 v0, v0, v27, v17
	ds_write2st64_b32 v3, v4, v12 offset0:2 offset1:3
	v_pack_b32_f16 v4, v18, v11
	v_pack_b32_f16 v11, v25, v15
	ds_write2st64_b32 v3, v4, v11 offset0:4 offset1:5
	v_pack_b32_f16 v4, v23, v13
	v_pack_b32_f16 v0, v19, v0
	ds_write2st64_b32 v3, v4, v0 offset0:6 offset1:7
	s_waitcnt lgkmcnt(0)
	s_barrier
	s_and_saveexec_b64 s[4:5], s[0:1]
	s_cbranch_execz .LBB0_17
; %bb.16:
	v_mad_u64_u32 v[3:4], s[0:1], s18, v10, 0
	v_mad_u64_u32 v[11:12], s[0:1], s16, v5, 0
	v_mov_b32_e32 v0, v4
	v_mad_u64_u32 v[13:14], s[0:1], s19, v10, v[0:1]
	v_mov_b32_e32 v0, v12
	s_mul_i32 s3, s7, s2
	s_mul_hi_u32 s4, s6, s2
	v_mad_u64_u32 v[14:15], s[0:1], s17, v5, v[0:1]
	s_add_i32 s1, s4, s3
	s_mul_i32 s0, s6, s2
	v_or_b32_e32 v0, v8, v5
	v_lshl_add_u32 v0, v0, 2, 0
	s_lshl_b64 s[0:1], s[0:1], 2
	ds_read_b32 v10, v0
	s_add_u32 s0, s22, s0
	v_lshlrev_b64 v[0:1], 2, v[1:2]
	s_addc_u32 s1, s23, s1
	v_mov_b32_e32 v4, v13
	v_mov_b32_e32 v2, s1
	v_add_co_u32_e32 v13, vcc, s0, v0
	v_mov_b32_e32 v12, v14
	v_addc_co_u32_e32 v14, vcc, v2, v1, vcc
	v_lshlrev_b64 v[0:1], 2, v[3:4]
	v_mad_u64_u32 v[2:3], s[0:1], s16, v9, 0
	v_add_co_u32_e32 v15, vcc, v13, v0
	v_addc_co_u32_e32 v14, vcc, v14, v1, vcc
	v_lshlrev_b64 v[0:1], 2, v[11:12]
	v_mad_u64_u32 v[3:4], s[0:1], s17, v9, v[3:4]
	v_add_co_u32_e32 v0, vcc, v15, v0
	v_addc_co_u32_e32 v1, vcc, v14, v1, vcc
	s_waitcnt lgkmcnt(0)
	global_store_dword v[0:1], v10, off
	v_add_u32_e32 v0, v8, v5
	v_add_u32_e32 v4, 0x80, v5
	v_lshl_add_u32 v12, v0, 2, 0
	v_lshlrev_b64 v[0:1], 2, v[2:3]
	v_mad_u64_u32 v[2:3], s[0:1], s16, v4, 0
	ds_read2st64_b32 v[8:9], v12 offset0:1 offset1:2
	v_add_co_u32_e32 v0, vcc, v15, v0
	v_mad_u64_u32 v[3:4], s[0:1], s17, v4, v[3:4]
	v_add_u32_e32 v4, 0xc0, v5
	v_mad_u64_u32 v[10:11], s[0:1], s16, v4, 0
	v_addc_co_u32_e32 v1, vcc, v14, v1, vcc
	s_waitcnt lgkmcnt(0)
	global_store_dword v[0:1], v8, off
	v_lshlrev_b64 v[0:1], 2, v[2:3]
	v_mov_b32_e32 v2, v11
	v_mad_u64_u32 v[2:3], s[0:1], s17, v4, v[2:3]
	v_or_b32_e32 v4, 0x100, v5
	v_add_co_u32_e32 v0, vcc, v15, v0
	v_mov_b32_e32 v11, v2
	v_mad_u64_u32 v[2:3], s[0:1], s16, v4, 0
	ds_read2st64_b32 v[12:13], v12 offset0:3 offset1:4
	v_addc_co_u32_e32 v1, vcc, v14, v1, vcc
	v_mad_u64_u32 v[3:4], s[0:1], s17, v4, v[3:4]
	v_add_u32_e32 v4, 0x140, v5
	global_store_dword v[0:1], v9, off
	v_lshlrev_b64 v[0:1], 2, v[10:11]
	v_mad_u64_u32 v[8:9], s[0:1], s16, v4, 0
	v_add_co_u32_e32 v0, vcc, v15, v0
	v_addc_co_u32_e32 v1, vcc, v14, v1, vcc
	s_waitcnt lgkmcnt(0)
	global_store_dword v[0:1], v12, off
	v_lshlrev_b64 v[0:1], 2, v[2:3]
	v_mov_b32_e32 v2, v9
	v_mad_u64_u32 v[2:3], s[0:1], s17, v4, v[2:3]
	v_add_u32_e32 v4, 0x180, v5
	v_add_co_u32_e32 v0, vcc, v15, v0
	v_mov_b32_e32 v9, v2
	v_mad_u64_u32 v[2:3], s[0:1], s16, v4, 0
	v_addc_co_u32_e32 v1, vcc, v14, v1, vcc
	v_add3_u32 v10, 0, v6, v7
	global_store_dword v[0:1], v13, off
	v_lshlrev_b64 v[0:1], 2, v[8:9]
	v_mad_u64_u32 v[3:4], s[0:1], s17, v4, v[3:4]
	ds_read2st64_b32 v[6:7], v10 offset0:5 offset1:6
	ds_read_b32 v9, v10 offset:1792
	v_add_u32_e32 v8, 0x1c0, v5
	v_mad_u64_u32 v[4:5], s[0:1], s16, v8, 0
	v_add_co_u32_e32 v0, vcc, v15, v0
	v_addc_co_u32_e32 v1, vcc, v14, v1, vcc
	s_waitcnt lgkmcnt(1)
	global_store_dword v[0:1], v6, off
	v_lshlrev_b64 v[0:1], 2, v[2:3]
	v_mov_b32_e32 v2, v5
	v_mad_u64_u32 v[2:3], s[0:1], s17, v8, v[2:3]
	v_add_co_u32_e32 v0, vcc, v15, v0
	v_addc_co_u32_e32 v1, vcc, v14, v1, vcc
	v_mov_b32_e32 v5, v2
	global_store_dword v[0:1], v7, off
	v_lshlrev_b64 v[0:1], 2, v[4:5]
	v_add_co_u32_e32 v0, vcc, v15, v0
	v_addc_co_u32_e32 v1, vcc, v14, v1, vcc
	s_waitcnt lgkmcnt(0)
	global_store_dword v[0:1], v9, off
.LBB0_17:
	s_endpgm
	.section	.rodata,"a",@progbits
	.p2align	6, 0x0
	.amdhsa_kernel fft_rtc_fwd_len512_factors_8_8_8_wgs_256_tpt_64_half_op_CI_CI_sbcc_twdbase5_3step
		.amdhsa_group_segment_fixed_size 0
		.amdhsa_private_segment_fixed_size 0
		.amdhsa_kernarg_size 112
		.amdhsa_user_sgpr_count 6
		.amdhsa_user_sgpr_private_segment_buffer 1
		.amdhsa_user_sgpr_dispatch_ptr 0
		.amdhsa_user_sgpr_queue_ptr 0
		.amdhsa_user_sgpr_kernarg_segment_ptr 1
		.amdhsa_user_sgpr_dispatch_id 0
		.amdhsa_user_sgpr_flat_scratch_init 0
		.amdhsa_user_sgpr_private_segment_size 0
		.amdhsa_uses_dynamic_stack 0
		.amdhsa_system_sgpr_private_segment_wavefront_offset 0
		.amdhsa_system_sgpr_workgroup_id_x 1
		.amdhsa_system_sgpr_workgroup_id_y 0
		.amdhsa_system_sgpr_workgroup_id_z 0
		.amdhsa_system_sgpr_workgroup_info 0
		.amdhsa_system_vgpr_workitem_id 0
		.amdhsa_next_free_vgpr 43
		.amdhsa_next_free_sgpr 51
		.amdhsa_reserve_vcc 1
		.amdhsa_reserve_flat_scratch 0
		.amdhsa_float_round_mode_32 0
		.amdhsa_float_round_mode_16_64 0
		.amdhsa_float_denorm_mode_32 3
		.amdhsa_float_denorm_mode_16_64 3
		.amdhsa_dx10_clamp 1
		.amdhsa_ieee_mode 1
		.amdhsa_fp16_overflow 0
		.amdhsa_exception_fp_ieee_invalid_op 0
		.amdhsa_exception_fp_denorm_src 0
		.amdhsa_exception_fp_ieee_div_zero 0
		.amdhsa_exception_fp_ieee_overflow 0
		.amdhsa_exception_fp_ieee_underflow 0
		.amdhsa_exception_fp_ieee_inexact 0
		.amdhsa_exception_int_div_zero 0
	.end_amdhsa_kernel
	.text
.Lfunc_end0:
	.size	fft_rtc_fwd_len512_factors_8_8_8_wgs_256_tpt_64_half_op_CI_CI_sbcc_twdbase5_3step, .Lfunc_end0-fft_rtc_fwd_len512_factors_8_8_8_wgs_256_tpt_64_half_op_CI_CI_sbcc_twdbase5_3step
                                        ; -- End function
	.section	.AMDGPU.csdata,"",@progbits
; Kernel info:
; codeLenInByte = 6116
; NumSgprs: 55
; NumVgprs: 43
; ScratchSize: 0
; MemoryBound: 0
; FloatMode: 240
; IeeeMode: 1
; LDSByteSize: 0 bytes/workgroup (compile time only)
; SGPRBlocks: 6
; VGPRBlocks: 10
; NumSGPRsForWavesPerEU: 55
; NumVGPRsForWavesPerEU: 43
; Occupancy: 5
; WaveLimiterHint : 1
; COMPUTE_PGM_RSRC2:SCRATCH_EN: 0
; COMPUTE_PGM_RSRC2:USER_SGPR: 6
; COMPUTE_PGM_RSRC2:TRAP_HANDLER: 0
; COMPUTE_PGM_RSRC2:TGID_X_EN: 1
; COMPUTE_PGM_RSRC2:TGID_Y_EN: 0
; COMPUTE_PGM_RSRC2:TGID_Z_EN: 0
; COMPUTE_PGM_RSRC2:TIDIG_COMP_CNT: 0
	.type	__hip_cuid_10a6dd639122439b,@object ; @__hip_cuid_10a6dd639122439b
	.section	.bss,"aw",@nobits
	.globl	__hip_cuid_10a6dd639122439b
__hip_cuid_10a6dd639122439b:
	.byte	0                               ; 0x0
	.size	__hip_cuid_10a6dd639122439b, 1

	.ident	"AMD clang version 19.0.0git (https://github.com/RadeonOpenCompute/llvm-project roc-6.4.0 25133 c7fe45cf4b819c5991fe208aaa96edf142730f1d)"
	.section	".note.GNU-stack","",@progbits
	.addrsig
	.addrsig_sym __hip_cuid_10a6dd639122439b
	.amdgpu_metadata
---
amdhsa.kernels:
  - .args:
      - .actual_access:  read_only
        .address_space:  global
        .offset:         0
        .size:           8
        .value_kind:     global_buffer
      - .address_space:  global
        .offset:         8
        .size:           8
        .value_kind:     global_buffer
      - .offset:         16
        .size:           8
        .value_kind:     by_value
      - .actual_access:  read_only
        .address_space:  global
        .offset:         24
        .size:           8
        .value_kind:     global_buffer
      - .actual_access:  read_only
        .address_space:  global
        .offset:         32
        .size:           8
        .value_kind:     global_buffer
      - .actual_access:  read_only
        .address_space:  global
        .offset:         40
        .size:           8
        .value_kind:     global_buffer
      - .offset:         48
        .size:           8
        .value_kind:     by_value
      - .actual_access:  read_only
        .address_space:  global
        .offset:         56
        .size:           8
        .value_kind:     global_buffer
      - .actual_access:  read_only
        .address_space:  global
        .offset:         64
        .size:           8
        .value_kind:     global_buffer
      - .offset:         72
        .size:           4
        .value_kind:     by_value
      - .actual_access:  read_only
        .address_space:  global
        .offset:         80
        .size:           8
        .value_kind:     global_buffer
      - .actual_access:  read_only
        .address_space:  global
        .offset:         88
        .size:           8
        .value_kind:     global_buffer
      - .actual_access:  read_only
        .address_space:  global
        .offset:         96
        .size:           8
        .value_kind:     global_buffer
      - .actual_access:  write_only
        .address_space:  global
        .offset:         104
        .size:           8
        .value_kind:     global_buffer
    .group_segment_fixed_size: 0
    .kernarg_segment_align: 8
    .kernarg_segment_size: 112
    .language:       OpenCL C
    .language_version:
      - 2
      - 0
    .max_flat_workgroup_size: 256
    .name:           fft_rtc_fwd_len512_factors_8_8_8_wgs_256_tpt_64_half_op_CI_CI_sbcc_twdbase5_3step
    .private_segment_fixed_size: 0
    .sgpr_count:     55
    .sgpr_spill_count: 0
    .symbol:         fft_rtc_fwd_len512_factors_8_8_8_wgs_256_tpt_64_half_op_CI_CI_sbcc_twdbase5_3step.kd
    .uniform_work_group_size: 1
    .uses_dynamic_stack: false
    .vgpr_count:     43
    .vgpr_spill_count: 0
    .wavefront_size: 64
amdhsa.target:   amdgcn-amd-amdhsa--gfx906
amdhsa.version:
  - 1
  - 2
...

	.end_amdgpu_metadata
